;; amdgpu-corpus repo=ROCm/rocFFT kind=compiled arch=gfx906 opt=O3
	.text
	.amdgcn_target "amdgcn-amd-amdhsa--gfx906"
	.amdhsa_code_object_version 6
	.protected	fft_rtc_fwd_len50_factors_10_5_wgs_50_tpt_5_dp_op_CI_CI_sbrc_unaligned ; -- Begin function fft_rtc_fwd_len50_factors_10_5_wgs_50_tpt_5_dp_op_CI_CI_sbrc_unaligned
	.globl	fft_rtc_fwd_len50_factors_10_5_wgs_50_tpt_5_dp_op_CI_CI_sbrc_unaligned
	.p2align	8
	.type	fft_rtc_fwd_len50_factors_10_5_wgs_50_tpt_5_dp_op_CI_CI_sbrc_unaligned,@function
fft_rtc_fwd_len50_factors_10_5_wgs_50_tpt_5_dp_op_CI_CI_sbrc_unaligned: ; @fft_rtc_fwd_len50_factors_10_5_wgs_50_tpt_5_dp_op_CI_CI_sbrc_unaligned
; %bb.0:
	s_load_dwordx8 s[8:15], s[4:5], 0x0
	s_mov_b32 s34, 0
	s_mov_b32 s30, 3
	s_mov_b64 s[36:37], 2
	s_mov_b32 s40, s34
	s_waitcnt lgkmcnt(0)
	s_load_dword s33, s[12:13], 0x8
	s_load_dwordx4 s[20:23], s[4:5], 0x58
	s_load_dwordx2 s[28:29], s[4:5], 0x20
	s_load_dwordx4 s[24:27], s[14:15], 0x0
	s_waitcnt lgkmcnt(0)
	s_add_i32 s0, s33, -1
	s_mul_hi_u32 s0, s0, 0xcccccccd
	s_lshr_b32 s0, s0, 3
	s_add_i32 s7, s0, 1
	v_cvt_f32_u32_e32 v1, s7
	s_sub_i32 s2, 0, s7
	s_load_dwordx4 s[16:19], s[28:29], 0x0
	v_cmp_gt_u64_e64 s[0:1], s[10:11], 2
	v_rcp_iflag_f32_e32 v1, v1
	v_mul_f32_e32 v1, 0x4f7ffffe, v1
	v_cvt_u32_f32_e32 v1, v1
	v_readfirstlane_b32 s3, v1
	s_mul_i32 s2, s2, s3
	s_mul_hi_u32 s2, s3, s2
	s_add_i32 s3, s3, s2
	s_mul_hi_u32 s2, s6, s3
	s_mul_i32 s3, s2, s7
	s_sub_i32 s3, s6, s3
	s_add_i32 s4, s2, 1
	s_sub_i32 s5, s3, s7
	s_cmp_ge_u32 s3, s7
	s_cselect_b32 s2, s4, s2
	s_cselect_b32 s3, s5, s3
	s_add_i32 s4, s2, 1
	s_cmp_ge_u32 s3, s7
	s_cselect_b32 s27, s4, s2
	s_mul_i32 s2, s27, s7
	s_waitcnt lgkmcnt(0)
	s_sub_i32 s19, s6, s2
	s_mul_i32 s19, s19, 10
	s_mul_i32 s3, s17, s19
	s_mul_hi_u32 s4, s16, s19
	s_mul_i32 s41, s19, s26
	s_mul_i32 s2, s16, s19
	s_add_i32 s3, s4, s3
	s_and_b64 vcc, exec, s[0:1]
	s_cbranch_vccz .LBB0_9
; %bb.1:
	v_mov_b32_e32 v1, s10
	v_mov_b32_e32 v2, s11
.LBB0_2:                                ; =>This Inner Loop Header: Depth=1
	s_lshl_b64 s[4:5], s[36:37], 3
	s_add_u32 s0, s12, s4
	s_addc_u32 s1, s13, s5
	s_load_dwordx2 s[36:37], s[0:1], 0x0
	s_waitcnt lgkmcnt(0)
	s_mov_b32 s35, s37
	s_cmp_lg_u64 s[34:35], 0
	s_cbranch_scc0 .LBB0_7
; %bb.3:                                ;   in Loop: Header=BB0_2 Depth=1
	v_cvt_f32_u32_e32 v3, s36
	v_cvt_f32_u32_e32 v4, s37
	s_sub_u32 s0, 0, s36
	s_subb_u32 s1, 0, s37
	v_mac_f32_e32 v3, 0x4f800000, v4
	v_rcp_f32_e32 v3, v3
	v_mul_f32_e32 v3, 0x5f7ffffc, v3
	v_mul_f32_e32 v4, 0x2f800000, v3
	v_trunc_f32_e32 v4, v4
	v_mac_f32_e32 v3, 0xcf800000, v4
	v_cvt_u32_f32_e32 v4, v4
	v_cvt_u32_f32_e32 v3, v3
	v_readfirstlane_b32 s31, v4
	v_readfirstlane_b32 s35, v3
	s_mul_i32 s38, s0, s31
	s_mul_hi_u32 s42, s0, s35
	s_mul_i32 s39, s1, s35
	s_add_i32 s38, s42, s38
	s_mul_i32 s43, s0, s35
	s_add_i32 s38, s38, s39
	s_mul_hi_u32 s39, s35, s38
	s_mul_i32 s42, s35, s38
	s_mul_hi_u32 s35, s35, s43
	s_add_u32 s35, s35, s42
	s_addc_u32 s39, 0, s39
	s_mul_hi_u32 s44, s31, s43
	s_mul_i32 s43, s31, s43
	s_add_u32 s35, s35, s43
	s_mul_hi_u32 s42, s31, s38
	s_addc_u32 s35, s39, s44
	s_addc_u32 s39, s42, 0
	s_mul_i32 s38, s31, s38
	s_add_u32 s35, s35, s38
	s_addc_u32 s38, 0, s39
	v_add_co_u32_e32 v3, vcc, s35, v3
	s_cmp_lg_u64 vcc, 0
	s_addc_u32 s31, s31, s38
	v_readfirstlane_b32 s38, v3
	s_mul_i32 s35, s0, s31
	s_mul_hi_u32 s39, s0, s38
	s_add_i32 s35, s39, s35
	s_mul_i32 s1, s1, s38
	s_add_i32 s35, s35, s1
	s_mul_i32 s0, s0, s38
	s_mul_hi_u32 s39, s31, s0
	s_mul_i32 s42, s31, s0
	s_mul_i32 s44, s38, s35
	s_mul_hi_u32 s0, s38, s0
	s_mul_hi_u32 s43, s38, s35
	s_add_u32 s0, s0, s44
	s_addc_u32 s38, 0, s43
	s_add_u32 s0, s0, s42
	s_mul_hi_u32 s1, s31, s35
	s_addc_u32 s0, s38, s39
	s_addc_u32 s1, s1, 0
	s_mul_i32 s35, s31, s35
	s_add_u32 s0, s0, s35
	s_addc_u32 s1, 0, s1
	v_add_co_u32_e32 v3, vcc, s0, v3
	s_cmp_lg_u64 vcc, 0
	s_addc_u32 s0, s31, s1
	v_readfirstlane_b32 s31, v3
	s_mul_hi_u32 s1, s27, s0
	s_mul_i32 s0, s27, s0
	s_mul_hi_u32 s31, s27, s31
	s_add_u32 s0, s31, s0
	s_addc_u32 s31, 0, s1
	s_mul_i32 s0, s37, s31
	s_mul_hi_u32 s1, s36, s31
	s_add_i32 s35, s1, s0
	s_mul_i32 s1, s36, s31
	v_mov_b32_e32 v3, s1
	s_sub_i32 s0, 0, s35
	v_sub_co_u32_e32 v3, vcc, s27, v3
	s_cmp_lg_u64 vcc, 0
	s_subb_u32 s38, s0, s37
	v_subrev_co_u32_e64 v4, s[0:1], s36, v3
	s_cmp_lg_u64 s[0:1], 0
	s_subb_u32 s0, s38, 0
	s_cmp_ge_u32 s0, s37
	v_readfirstlane_b32 s38, v4
	s_cselect_b32 s1, -1, 0
	s_cmp_ge_u32 s38, s36
	s_cselect_b32 s38, -1, 0
	s_cmp_eq_u32 s0, s37
	s_cselect_b32 s0, s38, s1
	s_add_u32 s1, s31, 1
	s_addc_u32 s38, 0, 0
	s_add_u32 s39, s31, 2
	s_addc_u32 s42, 0, 0
	s_cmp_lg_u32 s0, 0
	s_cselect_b32 s0, s39, s1
	s_cselect_b32 s1, s42, s38
	s_cmp_lg_u64 vcc, 0
	s_subb_u32 s35, 0, s35
	s_cmp_ge_u32 s35, s37
	v_readfirstlane_b32 s39, v3
	s_cselect_b32 s38, -1, 0
	s_cmp_ge_u32 s39, s36
	s_cselect_b32 s39, -1, 0
	s_cmp_eq_u32 s35, s37
	s_cselect_b32 s35, s39, s38
	s_cmp_lg_u32 s35, 0
	s_cselect_b32 s1, s1, 0
	s_cselect_b32 s0, s0, s31
	s_cbranch_execnz .LBB0_5
.LBB0_4:                                ;   in Loop: Header=BB0_2 Depth=1
	v_cvt_f32_u32_e32 v3, s36
	s_sub_i32 s0, 0, s36
	v_rcp_iflag_f32_e32 v3, v3
	v_mul_f32_e32 v3, 0x4f7ffffe, v3
	v_cvt_u32_f32_e32 v3, v3
	v_readfirstlane_b32 s1, v3
	s_mul_i32 s0, s0, s1
	s_mul_hi_u32 s0, s1, s0
	s_add_i32 s1, s1, s0
	s_mul_hi_u32 s0, s27, s1
	s_mul_i32 s31, s0, s36
	s_sub_i32 s31, s27, s31
	s_add_i32 s1, s0, 1
	s_sub_i32 s35, s31, s36
	s_cmp_ge_u32 s31, s36
	s_cselect_b32 s0, s1, s0
	s_cselect_b32 s31, s35, s31
	s_add_i32 s1, s0, 1
	s_cmp_ge_u32 s31, s36
	s_cselect_b32 s0, s1, s0
	s_mov_b32 s1, s34
.LBB0_5:                                ;   in Loop: Header=BB0_2 Depth=1
	s_mul_i32 s31, s0, s37
	s_mul_hi_u32 s35, s0, s36
	s_add_i32 s31, s35, s31
	s_mul_i32 s1, s1, s36
	s_add_i32 s31, s31, s1
	s_mul_i32 s1, s0, s36
	s_sub_u32 s1, s27, s1
	s_subb_u32 s27, 0, s31
	s_add_u32 s38, s14, s4
	s_addc_u32 s39, s15, s5
	s_load_dwordx2 s[38:39], s[38:39], 0x0
	s_mul_i32 s7, s7, s36
	s_waitcnt lgkmcnt(0)
	s_mul_i32 s31, s38, s27
	s_mul_hi_u32 s35, s38, s1
	s_add_i32 s31, s35, s31
	s_mul_i32 s35, s39, s1
	s_add_i32 s31, s31, s35
	s_mul_i32 s35, s38, s1
	s_add_u32 s41, s35, s41
	s_addc_u32 s40, s31, s40
	s_add_u32 s4, s28, s4
	s_addc_u32 s5, s29, s5
	s_load_dwordx2 s[4:5], s[4:5], 0x0
	s_waitcnt lgkmcnt(0)
	s_mul_i32 s27, s4, s27
	s_mul_hi_u32 s31, s4, s1
	s_add_i32 s27, s31, s27
	s_mul_i32 s5, s5, s1
	s_mov_b32 s31, s34
	s_add_i32 s27, s27, s5
	s_mul_i32 s1, s4, s1
	v_cmp_ge_u64_e32 vcc, s[30:31], v[1:2]
	s_add_u32 s2, s1, s2
	s_addc_u32 s3, s27, s3
	s_mov_b64 s[36:37], s[30:31]
	s_add_i32 s30, s30, 1
	s_cbranch_vccnz .LBB0_8
; %bb.6:                                ;   in Loop: Header=BB0_2 Depth=1
	s_mov_b32 s27, s0
	s_branch .LBB0_2
.LBB0_7:                                ;   in Loop: Header=BB0_2 Depth=1
                                        ; implicit-def: $sgpr0_sgpr1
	s_branch .LBB0_4
.LBB0_8:
	v_cvt_f32_u32_e32 v1, s7
	s_sub_i32 s0, 0, s7
	v_rcp_iflag_f32_e32 v1, v1
	v_mul_f32_e32 v1, 0x4f7ffffe, v1
	v_cvt_u32_f32_e32 v1, v1
	v_readfirstlane_b32 s1, v1
	s_mul_i32 s0, s0, s1
	s_mul_hi_u32 s0, s1, s0
	s_add_i32 s1, s1, s0
	s_mul_hi_u32 s0, s6, s1
	s_mul_i32 s1, s0, s7
	s_sub_i32 s1, s6, s1
	s_add_i32 s4, s0, 1
	s_sub_i32 s5, s1, s7
	s_cmp_ge_u32 s1, s7
	s_cselect_b32 s0, s4, s0
	s_cselect_b32 s1, s5, s1
	s_add_i32 s4, s0, 1
	s_cmp_ge_u32 s1, s7
	s_cselect_b32 s27, s4, s0
.LBB0_9:
	s_lshl_b64 s[0:1], s[10:11], 3
	s_add_u32 s4, s14, s0
	s_addc_u32 s5, s15, s1
	s_load_dwordx2 s[4:5], s[4:5], 0x0
	v_mul_u32_u24_e32 v1, 0x51f, v0
	v_lshrrev_b32_e32 v3, 16, v1
	v_mul_lo_u16_e32 v1, 50, v3
	v_sub_u16_e32 v4, v0, v1
	s_waitcnt lgkmcnt(0)
	s_mul_i32 s5, s5, s27
	s_mul_hi_u32 s6, s4, s27
	s_mul_i32 s4, s4, s27
	s_add_i32 s5, s6, s5
	s_add_u32 s6, s4, s41
	s_addc_u32 s7, s5, s40
	s_add_u32 s0, s28, s0
	s_addc_u32 s1, s29, s1
	s_load_dwordx2 s[0:1], s[0:1], 0x0
	s_add_i32 s4, s19, 10
	s_cmp_le_u32 s4, s33
	s_cselect_b64 s[4:5], -1, 0
	s_mov_b64 s[10:11], -1
	s_and_b64 vcc, exec, s[4:5]
	s_cbranch_vccnz .LBB0_14
; %bb.10:
	v_add_u32_e32 v5, s19, v3
	v_cmp_gt_u32_e32 vcc, s33, v5
	s_and_saveexec_b64 s[10:11], vcc
	s_cbranch_execz .LBB0_13
; %bb.11:
	v_mad_u64_u32 v[1:2], s[12:13], s24, v4, 0
	s_lshl_b64 s[12:13], s[6:7], 4
	s_add_u32 s12, s20, s12
	v_mad_u64_u32 v[6:7], s[14:15], s25, v4, v[2:3]
	s_addc_u32 s13, s21, s13
	v_mov_b32_e32 v7, s13
	v_mov_b32_e32 v2, v6
	v_lshlrev_b64 v[1:2], 4, v[1:2]
	v_lshlrev_b32_e32 v8, 4, v4
	v_add_co_u32_e32 v6, vcc, s12, v1
	v_mul_lo_u32 v1, v3, s26
	v_addc_co_u32_e32 v7, vcc, v7, v2, vcc
	v_mul_u32_u24_e32 v2, 0x320, v3
	v_add3_u32 v8, v2, v8, 0
	s_mov_b64 s[12:13], 0
	v_mov_b32_e32 v2, 0
.LBB0_12:                               ; =>This Inner Loop Header: Depth=1
	v_lshlrev_b64 v[9:10], 4, v[1:2]
	v_add_u32_e32 v5, 1, v5
	v_add_co_u32_e32 v9, vcc, v6, v9
	v_addc_co_u32_e32 v10, vcc, v7, v10, vcc
	global_load_dwordx4 v[9:12], v[9:10], off
	v_cmp_le_u32_e32 vcc, s33, v5
	v_add_u32_e32 v1, s26, v1
	s_or_b64 s[12:13], vcc, s[12:13]
	s_waitcnt vmcnt(0)
	ds_write_b128 v8, v[9:12]
	v_add_u32_e32 v8, 0x320, v8
	s_andn2_b64 exec, exec, s[12:13]
	s_cbranch_execnz .LBB0_12
.LBB0_13:
	s_or_b64 exec, exec, s[10:11]
	s_mov_b64 s[10:11], 0
.LBB0_14:
	s_andn2_b64 vcc, exec, s[10:11]
	s_cbranch_vccnz .LBB0_16
; %bb.15:
	v_mad_u64_u32 v[1:2], s[10:11], s24, v4, 0
	v_mul_lo_u32 v29, s26, v3
	s_lshl_b64 s[6:7], s[6:7], 4
	v_mad_u64_u32 v[5:6], s[10:11], s25, v4, v[2:3]
	s_add_u32 s6, s20, s6
	s_addc_u32 s7, s21, s7
	v_mov_b32_e32 v2, v5
	v_lshlrev_b64 v[1:2], 4, v[1:2]
	v_mov_b32_e32 v30, 0
	v_mov_b32_e32 v5, s7
	v_add_co_u32_e32 v41, vcc, s6, v1
	v_addc_co_u32_e32 v42, vcc, v5, v2, vcc
	v_lshlrev_b64 v[1:2], 4, v[29:30]
	v_add_u32_e32 v29, s26, v29
	v_add_co_u32_e32 v1, vcc, v41, v1
	v_lshlrev_b64 v[5:6], 4, v[29:30]
	v_addc_co_u32_e32 v2, vcc, v42, v2, vcc
	v_add_u32_e32 v29, s26, v29
	v_lshlrev_b64 v[7:8], 4, v[29:30]
	v_add_co_u32_e32 v15, vcc, v41, v5
	v_add_u32_e32 v29, s26, v29
	v_addc_co_u32_e32 v16, vcc, v42, v6, vcc
	v_lshlrev_b64 v[13:14], 4, v[29:30]
	v_add_co_u32_e32 v21, vcc, v41, v7
	v_addc_co_u32_e32 v22, vcc, v42, v8, vcc
	global_load_dwordx4 v[5:8], v[1:2], off
	global_load_dwordx4 v[9:12], v[15:16], off
	v_add_co_u32_e32 v1, vcc, v41, v13
	v_addc_co_u32_e32 v2, vcc, v42, v14, vcc
	v_add_u32_e32 v29, s26, v29
	global_load_dwordx4 v[13:16], v[21:22], off
	global_load_dwordx4 v[17:20], v[1:2], off
	v_lshlrev_b64 v[1:2], 4, v[29:30]
	v_add_u32_e32 v29, s26, v29
	v_lshlrev_b64 v[21:22], 4, v[29:30]
	v_add_co_u32_e32 v1, vcc, v41, v1
	v_add_u32_e32 v29, s26, v29
	v_addc_co_u32_e32 v2, vcc, v42, v2, vcc
	v_lshlrev_b64 v[23:24], 4, v[29:30]
	v_add_co_u32_e32 v31, vcc, v41, v21
	v_add_u32_e32 v29, s26, v29
	v_addc_co_u32_e32 v32, vcc, v42, v22, vcc
	;; [unrolled: 4-line block ×3, first 2 shown]
	v_add_co_u32_e32 v39, vcc, v41, v25
	v_lshlrev_b64 v[21:22], 4, v[29:30]
	v_addc_co_u32_e32 v40, vcc, v42, v26, vcc
	v_add_co_u32_e32 v45, vcc, v41, v21
	v_add_u32_e32 v29, s26, v29
	v_addc_co_u32_e32 v46, vcc, v42, v22, vcc
	global_load_dwordx4 v[21:24], v[1:2], off
	global_load_dwordx4 v[25:28], v[31:32], off
	v_lshlrev_b64 v[1:2], 4, v[29:30]
	global_load_dwordx4 v[29:32], v[37:38], off
	global_load_dwordx4 v[33:36], v[39:40], off
	v_add_co_u32_e32 v1, vcc, v41, v1
	v_addc_co_u32_e32 v2, vcc, v42, v2, vcc
	global_load_dwordx4 v[37:40], v[45:46], off
	global_load_dwordx4 v[41:44], v[1:2], off
	v_mul_u32_u24_e32 v1, 0x320, v3
	v_lshlrev_b32_e32 v2, 4, v4
	v_add3_u32 v1, 0, v1, v2
	v_add_u32_e32 v2, 0x800, v1
	s_waitcnt vmcnt(9)
	ds_write_b128 v1, v[5:8]
	s_waitcnt vmcnt(8)
	ds_write_b128 v1, v[9:12] offset:800
	s_waitcnt vmcnt(7)
	ds_write_b128 v1, v[13:16] offset:1600
	;; [unrolled: 2-line block ×3, first 2 shown]
	s_waitcnt vmcnt(5)
	ds_write2_b64 v2, v[21:22], v[23:24] offset0:144 offset1:145
	s_waitcnt vmcnt(4)
	ds_write2_b64 v2, v[25:26], v[27:28] offset0:244 offset1:245
	v_add_u32_e32 v2, 0x1000, v1
	v_add_u32_e32 v1, 0x1800, v1
	s_waitcnt vmcnt(3)
	ds_write2_b64 v2, v[29:30], v[31:32] offset0:88 offset1:89
	s_waitcnt vmcnt(2)
	ds_write2_b64 v2, v[33:34], v[35:36] offset0:188 offset1:189
	;; [unrolled: 2-line block ×4, first 2 shown]
.LBB0_16:
	s_movk_i32 s6, 0x3334
	v_mul_u32_u24_sdwa v1, v0, s6 dst_sel:DWORD dst_unused:UNUSED_PAD src0_sel:WORD_0 src1_sel:DWORD
	v_add_u32_sdwa v1, s19, v1 dst_sel:DWORD dst_unused:UNUSED_PAD src0_sel:DWORD src1_sel:WORD_1
	s_mov_b32 s6, 0xcccccccd
	v_mul_hi_u32 v2, v1, s6
	s_mov_b32 s6, 0x33333334
	v_mul_hi_u32 v3, v0, s6
	s_waitcnt lgkmcnt(0)
	v_lshrrev_b32_e32 v2, 3, v2
	v_mul_lo_u32 v2, v2, 10
	v_mul_u32_u24_e32 v3, 5, v3
	v_sub_u32_e32 v28, v0, v3
	; wave barrier
	v_sub_u32_e32 v1, v1, v2
	v_mul_u32_u24_e32 v1, 50, v1
	v_lshlrev_b32_e32 v1, 4, v1
	v_lshlrev_b32_e32 v2, 4, v28
	v_add3_u32 v29, 0, v1, v2
	v_add3_u32 v27, 0, v2, v1
	ds_read_b128 v[23:26], v29
	ds_read_b128 v[13:16], v27 offset:80
	ds_read_b128 v[30:33], v27 offset:160
	;; [unrolled: 1-line block ×6, first 2 shown]
	s_waitcnt lgkmcnt(4)
	v_add_f64 v[21:22], v[23:24], v[30:31]
	ds_read_b128 v[9:12], v27 offset:560
	s_waitcnt lgkmcnt(3)
	v_add_f64 v[46:47], v[34:35], v[38:39]
	ds_read_b128 v[42:45], v27 offset:640
	ds_read_b128 v[1:4], v27 offset:720
	s_mov_b32 s12, 0x134454ff
	s_mov_b32 s13, 0x3fee6f0e
	v_add_f64 v[52:53], v[36:37], -v[40:41]
	s_waitcnt lgkmcnt(1)
	v_add_f64 v[48:49], v[32:33], -v[44:45]
	v_add_f64 v[21:22], v[21:22], v[34:35]
	v_add_f64 v[54:55], v[30:31], -v[34:35]
	v_fma_f64 v[46:47], v[46:47], -0.5, v[23:24]
	v_add_f64 v[56:57], v[42:43], -v[38:39]
	v_add_f64 v[58:59], v[30:31], v[42:43]
	s_mov_b32 s10, 0x4755a5e
	s_mov_b32 s11, 0x3fe2cf23
	;; [unrolled: 1-line block ×3, first 2 shown]
	v_add_f64 v[21:22], v[21:22], v[38:39]
	s_mov_b32 s20, s12
	v_fma_f64 v[50:51], v[48:49], s[12:13], v[46:47]
	v_add_f64 v[54:55], v[54:55], v[56:57]
	v_fma_f64 v[56:57], v[58:59], -0.5, v[23:24]
	v_fma_f64 v[46:47], v[48:49], s[20:21], v[46:47]
	v_add_f64 v[60:61], v[25:26], v[32:33]
	v_add_f64 v[58:59], v[36:37], v[40:41]
	v_add_f64 v[21:22], v[21:22], v[42:43]
	v_add_f64 v[62:63], v[30:31], -v[42:43]
	v_fma_f64 v[50:51], v[52:53], s[10:11], v[50:51]
	v_add_f64 v[30:31], v[34:35], -v[30:31]
	v_add_f64 v[42:43], v[38:39], -v[42:43]
	s_mov_b32 s6, 0x372fe950
	s_mov_b32 s7, 0x3fd3c6ef
	;; [unrolled: 1-line block ×4, first 2 shown]
	v_fma_f64 v[46:47], v[52:53], s[14:15], v[46:47]
	v_fma_f64 v[23:24], v[54:55], s[6:7], v[50:51]
	v_fma_f64 v[50:51], v[52:53], s[20:21], v[56:57]
	v_fma_f64 v[52:53], v[52:53], s[12:13], v[56:57]
	v_add_f64 v[56:57], v[60:61], v[36:37]
	v_fma_f64 v[58:59], v[58:59], -0.5, v[25:26]
	v_add_f64 v[30:31], v[30:31], v[42:43]
	v_add_f64 v[42:43], v[32:33], v[44:45]
	v_fma_f64 v[46:47], v[54:55], s[6:7], v[46:47]
	v_add_f64 v[54:55], v[5:6], v[9:10]
	v_fma_f64 v[50:51], v[48:49], s[10:11], v[50:51]
	v_fma_f64 v[48:49], v[48:49], s[14:15], v[52:53]
	v_add_f64 v[52:53], v[56:57], v[40:41]
	v_fma_f64 v[60:61], v[62:63], s[20:21], v[58:59]
	v_add_f64 v[34:35], v[34:35], -v[38:39]
	v_fma_f64 v[25:26], v[42:43], -0.5, v[25:26]
	v_add_f64 v[38:39], v[32:33], -v[36:37]
	v_add_f64 v[64:65], v[44:45], -v[40:41]
	v_fma_f64 v[58:59], v[62:63], s[12:13], v[58:59]
	v_fma_f64 v[42:43], v[30:31], s[6:7], v[48:49]
	v_add_f64 v[48:49], v[52:53], v[44:45]
	v_fma_f64 v[52:53], v[54:55], -0.5, v[13:14]
	s_waitcnt lgkmcnt(0)
	v_add_f64 v[54:55], v[19:20], -v[3:4]
	v_fma_f64 v[56:57], v[34:35], s[14:15], v[60:61]
	v_fma_f64 v[50:51], v[30:31], s[6:7], v[50:51]
	v_add_f64 v[30:31], v[13:14], v[17:18]
	v_fma_f64 v[60:61], v[34:35], s[12:13], v[25:26]
	v_add_f64 v[32:33], v[36:37], -v[32:33]
	v_add_f64 v[36:37], v[40:41], -v[44:45]
	v_fma_f64 v[25:26], v[34:35], s[20:21], v[25:26]
	v_add_f64 v[38:39], v[38:39], v[64:65]
	v_fma_f64 v[40:41], v[54:55], s[12:13], v[52:53]
	v_add_f64 v[44:45], v[7:8], -v[11:12]
	v_add_f64 v[64:65], v[17:18], -v[5:6]
	;; [unrolled: 1-line block ×3, first 2 shown]
	v_fma_f64 v[34:35], v[34:35], s[10:11], v[58:59]
	v_add_f64 v[58:59], v[17:18], v[1:2]
	v_add_f64 v[30:31], v[30:31], v[5:6]
	;; [unrolled: 1-line block ×3, first 2 shown]
	v_fma_f64 v[36:37], v[62:63], s[10:11], v[25:26]
	v_fma_f64 v[56:57], v[38:39], s[6:7], v[56:57]
	;; [unrolled: 1-line block ×4, first 2 shown]
	v_add_f64 v[62:63], v[64:65], v[66:67]
	v_fma_f64 v[25:26], v[38:39], s[6:7], v[34:35]
	v_fma_f64 v[13:14], v[58:59], -0.5, v[13:14]
	v_add_f64 v[38:39], v[7:8], v[11:12]
	v_add_f64 v[30:31], v[30:31], v[9:10]
	v_fma_f64 v[58:59], v[32:33], s[6:7], v[36:37]
	v_add_f64 v[36:37], v[19:20], v[3:4]
	v_fma_f64 v[34:35], v[54:55], s[20:21], v[52:53]
	v_fma_f64 v[52:53], v[32:33], s[6:7], v[60:61]
	;; [unrolled: 1-line block ×4, first 2 shown]
	v_fma_f64 v[38:39], v[38:39], -0.5, v[15:16]
	v_add_f64 v[60:61], v[17:18], -v[1:2]
	v_add_f64 v[30:31], v[30:31], v[1:2]
	v_add_f64 v[17:18], v[5:6], -v[17:18]
	v_add_f64 v[1:2], v[9:10], -v[1:2]
	;; [unrolled: 1-line block ×3, first 2 shown]
	v_fma_f64 v[9:10], v[36:37], -0.5, v[15:16]
	v_fma_f64 v[13:14], v[44:45], s[12:13], v[13:14]
	v_add_f64 v[15:16], v[15:16], v[19:20]
	v_fma_f64 v[34:35], v[44:45], s[14:15], v[34:35]
	v_fma_f64 v[36:37], v[54:55], s[10:11], v[40:41]
	;; [unrolled: 1-line block ×3, first 2 shown]
	v_add_f64 v[44:45], v[19:20], -v[7:8]
	v_add_f64 v[64:65], v[3:4], -v[11:12]
	v_add_f64 v[1:2], v[17:18], v[1:2]
	v_fma_f64 v[17:18], v[5:6], s[12:13], v[9:10]
	v_add_f64 v[19:20], v[7:8], -v[19:20]
	v_add_f64 v[66:67], v[11:12], -v[3:4]
	v_fma_f64 v[13:14], v[54:55], s[14:15], v[13:14]
	v_add_f64 v[7:8], v[15:16], v[7:8]
	v_fma_f64 v[38:39], v[60:61], s[12:13], v[38:39]
	v_fma_f64 v[9:10], v[5:6], s[20:21], v[9:10]
	;; [unrolled: 1-line block ×3, first 2 shown]
	v_add_f64 v[40:41], v[44:45], v[64:65]
	v_fma_f64 v[17:18], v[60:61], s[14:15], v[17:18]
	v_add_f64 v[19:20], v[19:20], v[66:67]
	v_fma_f64 v[36:37], v[1:2], s[6:7], v[36:37]
	v_fma_f64 v[13:14], v[1:2], s[6:7], v[13:14]
	v_add_f64 v[1:2], v[7:8], v[11:12]
	v_fma_f64 v[5:6], v[5:6], s[10:11], v[38:39]
	v_fma_f64 v[7:8], v[60:61], s[10:11], v[9:10]
	s_mov_b32 s24, 0x9b97f4a8
	s_mov_b32 s25, 0x3fe9e377
	v_fma_f64 v[9:10], v[40:41], s[6:7], v[15:16]
	v_mul_f64 v[15:16], v[32:33], s[24:25]
	v_fma_f64 v[11:12], v[19:20], s[6:7], v[17:18]
	v_add_f64 v[44:45], v[1:2], v[3:4]
	v_fma_f64 v[3:4], v[40:41], s[6:7], v[5:6]
	v_fma_f64 v[5:6], v[19:20], s[6:7], v[7:8]
	;; [unrolled: 1-line block ×3, first 2 shown]
	v_mul_f64 v[17:18], v[13:14], s[6:7]
	v_add_f64 v[1:2], v[21:22], v[30:31]
	v_fma_f64 v[38:39], v[9:10], s[10:11], v[15:16]
	v_mul_f64 v[15:16], v[32:33], s[14:15]
	v_mul_f64 v[7:8], v[11:12], s[12:13]
	;; [unrolled: 1-line block ×6, first 2 shown]
	v_fma_f64 v[60:61], v[5:6], s[12:13], -v[17:18]
	v_add_f64 v[5:6], v[23:24], v[38:39]
	v_fma_f64 v[64:65], v[9:10], s[24:25], v[15:16]
	v_fma_f64 v[36:37], v[36:37], s[6:7], v[7:8]
	;; [unrolled: 1-line block ×3, first 2 shown]
	v_fma_f64 v[40:41], v[13:14], s[20:21], -v[40:41]
	v_fma_f64 v[62:63], v[3:4], s[10:11], -v[19:20]
	;; [unrolled: 1-line block ×3, first 2 shown]
	v_add_f64 v[3:4], v[48:49], v[44:45]
	v_add_f64 v[13:14], v[42:43], v[60:61]
	;; [unrolled: 1-line block ×8, first 2 shown]
	v_add_f64 v[21:22], v[21:22], -v[30:31]
	v_add_f64 v[30:31], v[23:24], -v[38:39]
	;; [unrolled: 1-line block ×4, first 2 shown]
	s_movk_i32 s24, 0x90
	v_add_f64 v[34:35], v[50:51], -v[36:37]
	v_add_f64 v[36:37], v[52:53], -v[66:67]
	;; [unrolled: 1-line block ×3, first 2 shown]
	v_mad_u32_u24 v26, v28, s24, v27
	v_add_f64 v[38:39], v[42:43], -v[60:61]
	v_add_f64 v[42:43], v[46:47], -v[62:63]
	;; [unrolled: 1-line block ×3, first 2 shown]
	s_waitcnt lgkmcnt(0)
	; wave barrier
	ds_write_b128 v26, v[1:4]
	ds_write_b128 v26, v[5:8] offset:16
	ds_write_b128 v26, v[9:12] offset:32
	;; [unrolled: 1-line block ×9, first 2 shown]
	v_lshlrev_b32_e32 v1, 6, v28
	s_waitcnt lgkmcnt(0)
	; wave barrier
	s_waitcnt lgkmcnt(0)
	global_load_dwordx4 v[2:5], v1, s[8:9]
	global_load_dwordx4 v[6:9], v1, s[8:9] offset:16
	global_load_dwordx4 v[10:13], v1, s[8:9] offset:32
	global_load_dwordx4 v[14:17], v1, s[8:9] offset:48
	v_add_u32_e32 v1, 0x140, v1
	global_load_dwordx4 v[18:21], v1, s[8:9]
	global_load_dwordx4 v[22:25], v1, s[8:9] offset:16
	global_load_dwordx4 v[30:33], v1, s[8:9] offset:32
	;; [unrolled: 1-line block ×3, first 2 shown]
	ds_read_b128 v[38:41], v27 offset:160
	ds_read_b128 v[42:45], v29
	s_movk_i32 s8, 0xff70
	v_mad_i32_i24 v1, v28, s8, v26
	ds_read_b128 v[46:49], v27 offset:320
	ds_read_b128 v[50:53], v1 offset:80
	;; [unrolled: 1-line block ×5, first 2 shown]
	s_waitcnt vmcnt(7) lgkmcnt(6)
	v_mul_f64 v[28:29], v[40:41], v[4:5]
	v_mul_f64 v[4:5], v[38:39], v[4:5]
	s_waitcnt vmcnt(6) lgkmcnt(4)
	v_mul_f64 v[66:67], v[48:49], v[8:9]
	s_waitcnt vmcnt(5) lgkmcnt(1)
	v_mul_f64 v[70:71], v[60:61], v[12:13]
	v_mul_f64 v[8:9], v[46:47], v[8:9]
	;; [unrolled: 1-line block ×3, first 2 shown]
	v_fma_f64 v[28:29], v[38:39], v[2:3], -v[28:29]
	v_fma_f64 v[68:69], v[40:41], v[2:3], v[4:5]
	ds_read_b128 v[2:5], v27 offset:640
	ds_read_b128 v[38:41], v27 offset:560
	v_fma_f64 v[46:47], v[46:47], v[6:7], -v[66:67]
	v_fma_f64 v[58:59], v[58:59], v[10:11], -v[70:71]
	s_waitcnt vmcnt(3)
	v_mul_f64 v[70:71], v[56:57], v[20:21]
	s_waitcnt lgkmcnt(1)
	v_mul_f64 v[66:67], v[4:5], v[16:17]
	v_mul_f64 v[16:17], v[2:3], v[16:17]
	v_fma_f64 v[12:13], v[60:61], v[10:11], v[12:13]
	v_mul_f64 v[10:11], v[54:55], v[20:21]
	s_waitcnt vmcnt(2)
	v_mul_f64 v[20:21], v[64:65], v[24:25]
	v_fma_f64 v[48:49], v[48:49], v[6:7], v[8:9]
	ds_read_b128 v[6:9], v27 offset:720
	v_fma_f64 v[54:55], v[54:55], v[18:19], -v[70:71]
	v_fma_f64 v[60:61], v[2:3], v[14:15], -v[66:67]
	v_fma_f64 v[16:17], v[4:5], v[14:15], v[16:17]
	v_add_f64 v[4:5], v[46:47], v[58:59]
	v_mul_f64 v[14:15], v[62:63], v[24:25]
	v_fma_f64 v[24:25], v[56:57], v[18:19], v[10:11]
	v_fma_f64 v[56:57], v[62:63], v[22:23], -v[20:21]
	s_waitcnt vmcnt(1) lgkmcnt(1)
	v_mul_f64 v[10:11], v[40:41], v[32:33]
	v_mul_f64 v[18:19], v[38:39], v[32:33]
	v_add_f64 v[2:3], v[42:43], v[28:29]
	v_add_f64 v[20:21], v[68:69], -v[16:17]
	v_fma_f64 v[4:5], v[4:5], -0.5, v[42:43]
	v_fma_f64 v[32:33], v[64:65], v[22:23], v[14:15]
	s_waitcnt vmcnt(0) lgkmcnt(0)
	v_mul_f64 v[14:15], v[8:9], v[36:37]
	v_mul_f64 v[22:23], v[6:7], v[36:37]
	v_add_f64 v[36:37], v[28:29], v[60:61]
	v_fma_f64 v[38:39], v[38:39], v[30:31], -v[10:11]
	v_fma_f64 v[30:31], v[40:41], v[30:31], v[18:19]
	v_add_f64 v[18:19], v[48:49], -v[12:13]
	v_fma_f64 v[10:11], v[20:21], s[12:13], v[4:5]
	v_fma_f64 v[4:5], v[20:21], s[20:21], v[4:5]
	v_fma_f64 v[40:41], v[6:7], v[34:35], -v[14:15]
	v_fma_f64 v[34:35], v[8:9], v[34:35], v[22:23]
	v_fma_f64 v[6:7], v[36:37], -0.5, v[42:43]
	v_add_f64 v[8:9], v[28:29], -v[46:47]
	v_add_f64 v[14:15], v[60:61], -v[58:59]
	v_add_f64 v[2:3], v[2:3], v[46:47]
	v_fma_f64 v[10:11], v[18:19], s[10:11], v[10:11]
	v_add_f64 v[22:23], v[44:45], v[68:69]
	v_add_f64 v[36:37], v[48:49], v[12:13]
	v_fma_f64 v[4:5], v[18:19], s[14:15], v[4:5]
	v_fma_f64 v[42:43], v[18:19], s[20:21], v[6:7]
	v_add_f64 v[62:63], v[46:47], -v[28:29]
	v_add_f64 v[8:9], v[8:9], v[14:15]
	v_fma_f64 v[14:15], v[18:19], s[12:13], v[6:7]
	v_add_f64 v[2:3], v[2:3], v[58:59]
	v_add_f64 v[64:65], v[58:59], -v[60:61]
	v_add_f64 v[18:19], v[22:23], v[48:49]
	v_fma_f64 v[22:23], v[36:37], -0.5, v[44:45]
	v_add_f64 v[28:29], v[28:29], -v[60:61]
	v_fma_f64 v[36:37], v[20:21], s[10:11], v[42:43]
	v_fma_f64 v[6:7], v[8:9], s[6:7], v[10:11]
	;; [unrolled: 1-line block ×4, first 2 shown]
	v_add_f64 v[20:21], v[68:69], v[16:17]
	v_add_f64 v[2:3], v[2:3], v[60:61]
	;; [unrolled: 1-line block ×4, first 2 shown]
	v_fma_f64 v[60:61], v[28:29], s[20:21], v[22:23]
	v_add_f64 v[46:47], v[46:47], -v[58:59]
	v_add_f64 v[58:59], v[68:69], -v[48:49]
	v_add_f64 v[62:63], v[16:17], -v[12:13]
	v_fma_f64 v[20:21], v[20:21], -0.5, v[44:45]
	v_add_f64 v[48:49], v[48:49], -v[68:69]
	v_fma_f64 v[14:15], v[42:43], s[6:7], v[36:37]
	v_fma_f64 v[18:19], v[42:43], s[6:7], v[4:5]
	v_add_f64 v[4:5], v[8:9], v[16:17]
	v_fma_f64 v[8:9], v[46:47], s[14:15], v[60:61]
	v_add_f64 v[42:43], v[50:51], v[54:55]
	v_add_f64 v[12:13], v[12:13], -v[16:17]
	v_fma_f64 v[60:61], v[46:47], s[12:13], v[20:21]
	v_fma_f64 v[16:17], v[46:47], s[20:21], v[20:21]
	v_fma_f64 v[22:23], v[28:29], s[12:13], v[22:23]
	v_add_f64 v[36:37], v[56:57], v[38:39]
	v_add_f64 v[58:59], v[58:59], v[62:63]
	v_add_f64 v[64:65], v[54:55], -v[56:57]
	v_add_f64 v[20:21], v[42:43], v[56:57]
	v_add_f64 v[48:49], v[48:49], v[12:13]
	v_fma_f64 v[60:61], v[28:29], s[14:15], v[60:61]
	v_fma_f64 v[28:29], v[28:29], s[10:11], v[16:17]
	;; [unrolled: 1-line block ×3, first 2 shown]
	v_add_f64 v[66:67], v[40:41], -v[38:39]
	v_add_f64 v[46:47], v[54:55], v[40:41]
	v_fma_f64 v[36:37], v[36:37], -0.5, v[50:51]
	v_add_f64 v[68:69], v[20:21], v[38:39]
	v_add_f64 v[44:45], v[24:25], -v[34:35]
	v_fma_f64 v[8:9], v[58:59], s[6:7], v[8:9]
	v_fma_f64 v[20:21], v[48:49], s[6:7], v[28:29]
	v_add_f64 v[28:29], v[32:33], v[30:31]
	v_fma_f64 v[12:13], v[58:59], s[6:7], v[22:23]
	v_add_f64 v[58:59], v[24:25], v[34:35]
	v_add_f64 v[64:65], v[64:65], v[66:67]
	v_fma_f64 v[46:47], v[46:47], -0.5, v[50:51]
	v_fma_f64 v[16:17], v[48:49], s[6:7], v[60:61]
	v_add_f64 v[22:23], v[68:69], v[40:41]
	v_add_f64 v[50:51], v[56:57], -v[54:55]
	v_add_f64 v[60:61], v[38:39], -v[40:41]
	v_add_f64 v[66:67], v[52:53], v[24:25]
	v_fma_f64 v[28:29], v[28:29], -0.5, v[52:53]
	v_add_f64 v[40:41], v[54:55], -v[40:41]
	v_add_f64 v[62:63], v[32:33], -v[30:31]
	v_fma_f64 v[42:43], v[44:45], s[12:13], v[36:37]
	v_fma_f64 v[36:37], v[44:45], s[20:21], v[36:37]
	v_add_f64 v[38:39], v[56:57], -v[38:39]
	v_fma_f64 v[52:53], v[58:59], -0.5, v[52:53]
	v_add_f64 v[50:51], v[50:51], v[60:61]
	v_add_f64 v[54:55], v[66:67], v[32:33]
	v_fma_f64 v[56:57], v[40:41], s[20:21], v[28:29]
	v_add_f64 v[58:59], v[24:25], -v[32:33]
	v_add_f64 v[60:61], v[34:35], -v[30:31]
	v_fma_f64 v[28:29], v[40:41], s[12:13], v[28:29]
	v_fma_f64 v[48:49], v[62:63], s[20:21], v[46:47]
	;; [unrolled: 1-line block ×6, first 2 shown]
	v_add_f64 v[24:25], v[32:33], -v[24:25]
	v_add_f64 v[32:33], v[30:31], -v[34:35]
	v_fma_f64 v[52:53], v[38:39], s[20:21], v[52:53]
	v_add_f64 v[30:31], v[54:55], v[30:31]
	v_add_f64 v[54:55], v[58:59], v[60:61]
	v_fma_f64 v[28:29], v[38:39], s[10:11], v[28:29]
	v_fma_f64 v[48:49], v[44:45], s[10:11], v[48:49]
	;; [unrolled: 1-line block ×5, first 2 shown]
	v_add_f64 v[32:33], v[24:25], v[32:33]
	v_fma_f64 v[40:41], v[40:41], s[10:11], v[52:53]
	v_fma_f64 v[36:37], v[64:65], s[6:7], v[36:37]
	v_fma_f64 v[28:29], v[54:55], s[6:7], v[28:29]
	v_add_f64 v[24:25], v[30:31], v[34:35]
	v_fma_f64 v[42:43], v[64:65], s[6:7], v[42:43]
	v_fma_f64 v[30:31], v[54:55], s[6:7], v[46:47]
	;; [unrolled: 1-line block ×6, first 2 shown]
	s_mov_b32 s6, 0x1999999a
	s_waitcnt lgkmcnt(0)
	; wave barrier
	ds_write_b128 v1, v[2:5]
	ds_write_b128 v27, v[6:9] offset:160
	ds_write_b128 v27, v[14:17] offset:320
	;; [unrolled: 1-line block ×5, first 2 shown]
	ds_write2_b64 v1, v[42:43], v[30:31] offset0:30 offset1:31
	ds_write2_b64 v1, v[48:49], v[34:35] offset0:50 offset1:51
	;; [unrolled: 1-line block ×3, first 2 shown]
	v_mul_hi_u32 v2, v0, s6
	ds_write2_b64 v1, v[36:37], v[28:29] offset0:90 offset1:91
	s_waitcnt lgkmcnt(0)
	; wave barrier
	s_waitcnt lgkmcnt(0)
	v_mul_u32_u24_e32 v1, 10, v2
	v_sub_u32_e32 v0, v0, v1
	v_add_u32_e32 v1, s19, v0
	v_cmp_gt_u32_e32 vcc, s33, v1
	s_or_b64 s[4:5], s[4:5], vcc
	s_and_saveexec_b64 s[6:7], s[4:5]
	s_cbranch_execz .LBB0_18
; %bb.17:
	v_mad_u64_u32 v[4:5], s[4:5], s16, v0, 0
	s_mul_i32 s1, s1, s27
	v_mul_lo_u32 v8, v2, s18
	v_mov_b32_e32 v1, v5
	v_mad_u64_u32 v[5:6], s[4:5], s17, v0, v[1:2]
	s_mul_hi_u32 s4, s0, s27
	s_mul_i32 s0, s0, s27
	s_add_i32 s1, s4, s1
	s_lshl_b64 s[0:1], s[0:1], 4
	s_add_u32 s4, s22, s0
	s_addc_u32 s5, s23, s1
	s_lshl_b64 s[0:1], s[2:3], 4
	v_mul_i32_i24_e32 v0, 0x320, v0
	v_lshlrev_b32_e32 v1, 4, v2
	s_add_u32 s0, s4, s0
	v_lshlrev_b64 v[4:5], 4, v[4:5]
	v_add3_u32 v12, 0, v0, v1
	s_addc_u32 s1, s5, s1
	v_mov_b32_e32 v9, 0
	ds_read_b128 v[0:3], v12
	v_mov_b32_e32 v6, s1
	v_add_co_u32_e32 v13, vcc, s0, v4
	v_addc_co_u32_e32 v14, vcc, v6, v5, vcc
	v_lshlrev_b64 v[4:5], 4, v[8:9]
	s_mul_i32 s0, s18, 5
	v_add_co_u32_e32 v10, vcc, v13, v4
	v_addc_co_u32_e32 v11, vcc, v14, v5, vcc
	ds_read_b128 v[4:7], v12 offset:80
	v_add_u32_e32 v8, s0, v8
	s_waitcnt lgkmcnt(1)
	global_store_dwordx4 v[10:11], v[0:3], off
	s_nop 0
	v_lshlrev_b64 v[0:1], 4, v[8:9]
	v_add_u32_e32 v8, s0, v8
	v_add_co_u32_e32 v0, vcc, v13, v0
	v_addc_co_u32_e32 v1, vcc, v14, v1, vcc
	s_waitcnt lgkmcnt(0)
	global_store_dwordx4 v[0:1], v[4:7], off
	ds_read_b128 v[0:3], v12 offset:160
	v_lshlrev_b64 v[4:5], 4, v[8:9]
	v_add_u32_e32 v8, s0, v8
	v_add_co_u32_e32 v10, vcc, v13, v4
	v_addc_co_u32_e32 v11, vcc, v14, v5, vcc
	ds_read_b128 v[4:7], v12 offset:240
	s_waitcnt lgkmcnt(1)
	global_store_dwordx4 v[10:11], v[0:3], off
	s_nop 0
	v_lshlrev_b64 v[0:1], 4, v[8:9]
	v_add_u32_e32 v8, s0, v8
	v_add_co_u32_e32 v0, vcc, v13, v0
	v_addc_co_u32_e32 v1, vcc, v14, v1, vcc
	s_waitcnt lgkmcnt(0)
	global_store_dwordx4 v[0:1], v[4:7], off
	ds_read_b128 v[0:3], v12 offset:320
	v_lshlrev_b64 v[4:5], 4, v[8:9]
	v_add_u32_e32 v8, s0, v8
	v_add_co_u32_e32 v10, vcc, v13, v4
	v_addc_co_u32_e32 v11, vcc, v14, v5, vcc
	ds_read_b128 v[4:7], v12 offset:400
	s_waitcnt lgkmcnt(1)
	global_store_dwordx4 v[10:11], v[0:3], off
	s_nop 0
	v_lshlrev_b64 v[0:1], 4, v[8:9]
	v_add_u32_e32 v8, s0, v8
	v_add_co_u32_e32 v0, vcc, v13, v0
	v_addc_co_u32_e32 v1, vcc, v14, v1, vcc
	s_waitcnt lgkmcnt(0)
	global_store_dwordx4 v[0:1], v[4:7], off
	ds_read_b128 v[0:3], v12 offset:480
	v_lshlrev_b64 v[4:5], 4, v[8:9]
	v_add_u32_e32 v8, s0, v8
	v_add_co_u32_e32 v10, vcc, v13, v4
	v_addc_co_u32_e32 v11, vcc, v14, v5, vcc
	ds_read_b128 v[4:7], v12 offset:560
	s_waitcnt lgkmcnt(1)
	global_store_dwordx4 v[10:11], v[0:3], off
	s_nop 0
	v_lshlrev_b64 v[0:1], 4, v[8:9]
	v_add_u32_e32 v8, s0, v8
	v_add_co_u32_e32 v0, vcc, v13, v0
	v_addc_co_u32_e32 v1, vcc, v14, v1, vcc
	s_waitcnt lgkmcnt(0)
	global_store_dwordx4 v[0:1], v[4:7], off
	ds_read_b128 v[0:3], v12 offset:640
	v_lshlrev_b64 v[4:5], 4, v[8:9]
	v_add_u32_e32 v8, s0, v8
	v_add_co_u32_e32 v10, vcc, v13, v4
	v_addc_co_u32_e32 v11, vcc, v14, v5, vcc
	ds_read_b128 v[4:7], v12 offset:720
	s_waitcnt lgkmcnt(1)
	global_store_dwordx4 v[10:11], v[0:3], off
	s_nop 0
	v_lshlrev_b64 v[0:1], 4, v[8:9]
	v_add_co_u32_e32 v0, vcc, v13, v0
	v_addc_co_u32_e32 v1, vcc, v14, v1, vcc
	s_waitcnt lgkmcnt(0)
	global_store_dwordx4 v[0:1], v[4:7], off
.LBB0_18:
	s_endpgm
	.section	.rodata,"a",@progbits
	.p2align	6, 0x0
	.amdhsa_kernel fft_rtc_fwd_len50_factors_10_5_wgs_50_tpt_5_dp_op_CI_CI_sbrc_unaligned
		.amdhsa_group_segment_fixed_size 0
		.amdhsa_private_segment_fixed_size 0
		.amdhsa_kernarg_size 104
		.amdhsa_user_sgpr_count 6
		.amdhsa_user_sgpr_private_segment_buffer 1
		.amdhsa_user_sgpr_dispatch_ptr 0
		.amdhsa_user_sgpr_queue_ptr 0
		.amdhsa_user_sgpr_kernarg_segment_ptr 1
		.amdhsa_user_sgpr_dispatch_id 0
		.amdhsa_user_sgpr_flat_scratch_init 0
		.amdhsa_user_sgpr_private_segment_size 0
		.amdhsa_uses_dynamic_stack 0
		.amdhsa_system_sgpr_private_segment_wavefront_offset 0
		.amdhsa_system_sgpr_workgroup_id_x 1
		.amdhsa_system_sgpr_workgroup_id_y 0
		.amdhsa_system_sgpr_workgroup_id_z 0
		.amdhsa_system_sgpr_workgroup_info 0
		.amdhsa_system_vgpr_workitem_id 0
		.amdhsa_next_free_vgpr 72
		.amdhsa_next_free_sgpr 45
		.amdhsa_reserve_vcc 1
		.amdhsa_reserve_flat_scratch 0
		.amdhsa_float_round_mode_32 0
		.amdhsa_float_round_mode_16_64 0
		.amdhsa_float_denorm_mode_32 3
		.amdhsa_float_denorm_mode_16_64 3
		.amdhsa_dx10_clamp 1
		.amdhsa_ieee_mode 1
		.amdhsa_fp16_overflow 0
		.amdhsa_exception_fp_ieee_invalid_op 0
		.amdhsa_exception_fp_denorm_src 0
		.amdhsa_exception_fp_ieee_div_zero 0
		.amdhsa_exception_fp_ieee_overflow 0
		.amdhsa_exception_fp_ieee_underflow 0
		.amdhsa_exception_fp_ieee_inexact 0
		.amdhsa_exception_int_div_zero 0
	.end_amdhsa_kernel
	.text
.Lfunc_end0:
	.size	fft_rtc_fwd_len50_factors_10_5_wgs_50_tpt_5_dp_op_CI_CI_sbrc_unaligned, .Lfunc_end0-fft_rtc_fwd_len50_factors_10_5_wgs_50_tpt_5_dp_op_CI_CI_sbrc_unaligned
                                        ; -- End function
	.section	.AMDGPU.csdata,"",@progbits
; Kernel info:
; codeLenInByte = 5464
; NumSgprs: 49
; NumVgprs: 72
; ScratchSize: 0
; MemoryBound: 0
; FloatMode: 240
; IeeeMode: 1
; LDSByteSize: 0 bytes/workgroup (compile time only)
; SGPRBlocks: 6
; VGPRBlocks: 17
; NumSGPRsForWavesPerEU: 49
; NumVGPRsForWavesPerEU: 72
; Occupancy: 3
; WaveLimiterHint : 1
; COMPUTE_PGM_RSRC2:SCRATCH_EN: 0
; COMPUTE_PGM_RSRC2:USER_SGPR: 6
; COMPUTE_PGM_RSRC2:TRAP_HANDLER: 0
; COMPUTE_PGM_RSRC2:TGID_X_EN: 1
; COMPUTE_PGM_RSRC2:TGID_Y_EN: 0
; COMPUTE_PGM_RSRC2:TGID_Z_EN: 0
; COMPUTE_PGM_RSRC2:TIDIG_COMP_CNT: 0
	.type	__hip_cuid_d45c99a627e20008,@object ; @__hip_cuid_d45c99a627e20008
	.section	.bss,"aw",@nobits
	.globl	__hip_cuid_d45c99a627e20008
__hip_cuid_d45c99a627e20008:
	.byte	0                               ; 0x0
	.size	__hip_cuid_d45c99a627e20008, 1

	.ident	"AMD clang version 19.0.0git (https://github.com/RadeonOpenCompute/llvm-project roc-6.4.0 25133 c7fe45cf4b819c5991fe208aaa96edf142730f1d)"
	.section	".note.GNU-stack","",@progbits
	.addrsig
	.addrsig_sym __hip_cuid_d45c99a627e20008
	.amdgpu_metadata
---
amdhsa.kernels:
  - .args:
      - .actual_access:  read_only
        .address_space:  global
        .offset:         0
        .size:           8
        .value_kind:     global_buffer
      - .offset:         8
        .size:           8
        .value_kind:     by_value
      - .actual_access:  read_only
        .address_space:  global
        .offset:         16
        .size:           8
        .value_kind:     global_buffer
      - .actual_access:  read_only
        .address_space:  global
        .offset:         24
        .size:           8
        .value_kind:     global_buffer
      - .actual_access:  read_only
        .address_space:  global
        .offset:         32
        .size:           8
        .value_kind:     global_buffer
      - .offset:         40
        .size:           8
        .value_kind:     by_value
      - .actual_access:  read_only
        .address_space:  global
        .offset:         48
        .size:           8
        .value_kind:     global_buffer
      - .actual_access:  read_only
        .address_space:  global
        .offset:         56
        .size:           8
        .value_kind:     global_buffer
      - .offset:         64
        .size:           4
        .value_kind:     by_value
      - .actual_access:  read_only
        .address_space:  global
        .offset:         72
        .size:           8
        .value_kind:     global_buffer
      - .actual_access:  read_only
        .address_space:  global
        .offset:         80
        .size:           8
        .value_kind:     global_buffer
      - .actual_access:  read_only
        .address_space:  global
        .offset:         88
        .size:           8
        .value_kind:     global_buffer
      - .actual_access:  write_only
        .address_space:  global
        .offset:         96
        .size:           8
        .value_kind:     global_buffer
    .group_segment_fixed_size: 0
    .kernarg_segment_align: 8
    .kernarg_segment_size: 104
    .language:       OpenCL C
    .language_version:
      - 2
      - 0
    .max_flat_workgroup_size: 50
    .name:           fft_rtc_fwd_len50_factors_10_5_wgs_50_tpt_5_dp_op_CI_CI_sbrc_unaligned
    .private_segment_fixed_size: 0
    .sgpr_count:     49
    .sgpr_spill_count: 0
    .symbol:         fft_rtc_fwd_len50_factors_10_5_wgs_50_tpt_5_dp_op_CI_CI_sbrc_unaligned.kd
    .uniform_work_group_size: 1
    .uses_dynamic_stack: false
    .vgpr_count:     72
    .vgpr_spill_count: 0
    .wavefront_size: 64
amdhsa.target:   amdgcn-amd-amdhsa--gfx906
amdhsa.version:
  - 1
  - 2
...

	.end_amdgpu_metadata
